;; amdgpu-corpus repo=zjin-lcf/HeCBench kind=compiled arch=gfx1250 opt=O3
	.amdgcn_target "amdgcn-amd-amdhsa--gfx1250"
	.amdhsa_code_object_version 6
	.text
	.protected	_Z17finite_differencePfPKfS1_iiii ; -- Begin function _Z17finite_differencePfPKfS1_iiii
	.globl	_Z17finite_differencePfPKfS1_iiii
	.p2align	8
	.type	_Z17finite_differencePfPKfS1_iiii,@function
_Z17finite_differencePfPKfS1_iiii:      ; @_Z17finite_differencePfPKfS1_iiii
; %bb.0:
	s_load_b128 s[4:7], s[0:1], 0x18
	s_wait_kmcnt 0x0
	s_cmp_lt_i32 s6, 1
	s_cbranch_scc1 .LBB0_9
; %bb.1:
	s_load_b32 s2, s[0:1], 0x34
	s_bfe_u32 s8, ttmp6, 0x4000c
	s_bfe_u32 s9, ttmp6, 0x40010
	s_add_co_i32 s8, s8, 1
	s_add_co_i32 s9, s9, 1
	s_and_b32 s3, ttmp6, 15
	s_bfe_u32 s10, ttmp6, 0x40004
	s_mul_i32 s8, ttmp9, s8
	s_mul_i32 s9, ttmp7, s9
	s_getreg_b32 s11, hwreg(HW_REG_IB_STS2, 6, 4)
	s_add_co_i32 s3, s3, s8
	s_add_co_i32 s10, s10, s9
	v_bfe_u32 v11, v0, 10, 10
	v_and_b32_e32 v7, 0x3ff, v0
	s_load_b64 s[14:15], s[0:1], 0x10
	s_delay_alu instid0(VALU_DEP_2)
	v_cmp_gt_u32_e32 vcc_lo, 4, v11
	s_wait_kmcnt 0x0
	s_lshr_b32 s18, s2, 16
	s_and_b32 s19, s2, 0xffff
	s_cmp_eq_u32 s11, 0
	s_cselect_b32 s2, ttmp9, s3
	s_cselect_b32 s3, ttmp7, s10
	s_mul_i32 s21, s2, s19
	s_add_co_i32 s20, s4, 8
	v_mad_u32 v13, s3, s18, v11
	v_add_nc_u32_e32 v26, s21, v7
	s_lshl_b32 s2, s20, 2
	s_load_b128 s[8:11], s[0:1], 0x0
	s_add_co_i32 s2, s2, s7
	s_wait_xcnt 0x0
	s_lshl_b32 s0, s5, 3
	v_add3_u32 v0, s2, 4, v26
	s_add_co_i32 s2, s5, 8
	s_add_co_i32 s1, s3, 1
	s_mul_i32 s12, s2, s20
	s_mul_i32 s1, s1, s18
	v_mad_u32 v2, v13, s20, v0
	s_add_co_i32 s2, s12, s12
	s_ashr_i32 s13, s12, 31
	s_mov_b32 s3, 0
	s_lshl_b64 s[16:17], s[12:13], 2
	s_delay_alu instid0(VALU_DEP_1) | instskip(NEXT) | instid1(VALU_DEP_1)
	v_dual_add_nc_u32 v8, s2, v2 :: v_dual_ashrrev_i32 v3, 31, v2
	v_add_nc_u32_e32 v14, s2, v8
	v_cmp_gt_i32_e64 s2, s4, v26
	s_delay_alu instid0(VALU_DEP_2) | instskip(SKIP_1) | instid1(VALU_DEP_1)
	v_dual_ashrrev_i32 v9, 31, v8 :: v_dual_ashrrev_i32 v15, 31, v14
	s_wait_kmcnt 0x0
	v_lshl_add_u64 v[4:5], v[8:9], 2, s[10:11]
	s_delay_alu instid0(VALU_DEP_2) | instskip(SKIP_1) | instid1(VALU_DEP_3)
	v_lshl_add_u64 v[0:1], v[14:15], 2, s[10:11]
	v_mul_u32_u24_e32 v15, 0xa0, v11
	v_add_nc_u64_e32 v[22:23], s[16:17], v[4:5]
	s_delay_alu instid0(VALU_DEP_3) | instskip(SKIP_1) | instid1(VALU_DEP_1)
	v_add_nc_u64_e32 v[16:17], s[16:17], v[0:1]
	v_lshl_add_u64 v[0:1], v[2:3], 2, s[10:11]
	v_add_nc_u64_e32 v[20:21], s[16:17], v[0:1]
	s_delay_alu instid0(VALU_DEP_3) | instskip(NEXT) | instid1(VALU_DEP_1)
	v_add_nc_u64_e32 v[18:19], s[16:17], v[16:17]
	v_add_nc_u64_e32 v[24:25], s[16:17], v[18:19]
	s_clause 0x7
	global_load_b32 v0, v8, s[10:11] scale_offset
	global_load_b32 v3, v2, s[10:11] scale_offset
	global_load_b32 v1, v[20:21], off
	global_load_b32 v12, v14, s[10:11] scale_offset
	global_load_b32 v4, v[16:17], off
	global_load_b32 v5, v[18:19], off
	;; [unrolled: 1-line block ×4, first 2 shown]
	s_wait_xcnt 0x6
	v_add_nc_u32_e32 v2, s7, v7
	v_add3_u32 v8, v13, s0, 64
	s_lshl_b32 s0, s5, 2
	s_lshl_b32 s7, s4, 2
	v_add3_u32 v9, v13, s0, 32
	s_add_co_i32 s0, s0, s1
	v_mad_u32 v8, v8, s20, v2
	s_add_co_i32 s13, s7, s21
	v_cmp_gt_i32_e64 s1, s5, v13
	s_wait_xcnt 0x4
	v_mul_lo_u32 v14, v9, s20
	v_add3_u32 v9, s0, v11, 32
	v_lshl_add_u32 v13, v7, 2, v15
	v_cmp_gt_u32_e64 s0, 4, v7
	s_and_b32 s1, s1, s2
	s_lshl_b32 s2, s19, 2
	s_wait_xcnt 0x3
	v_mad_u32 v17, v9, s20, v2
	v_lshl_add_u32 v15, s19, 2, v13
	v_add3_u32 v8, s13, v8, 36
	s_wait_xcnt 0x2
	v_add_nc_u32_e32 v19, 0x400, v13
	s_mov_b32 s4, s3
	s_delay_alu instid0(VALU_DEP_2) | instskip(SKIP_3) | instid1(VALU_DEP_4)
	v_ashrrev_i32_e32 v9, 31, v8
	v_add3_u32 v2, v2, v14, s21
	v_mad_u32 v14, 0xa0, s18, v13
	v_add3_u32 v17, s13, v17, 36
	v_lshl_add_u64 v[8:9], v[8:9], 2, s[10:11]
	s_delay_alu instid0(VALU_DEP_4)
	v_add3_u32 v16, v2, s7, 36
	v_add_nc_u32_e32 v18, 4, v2
	s_branch .LBB0_3
.LBB0_2:                                ;   in Loop: Header=BB0_3 Depth=1
	s_wait_xcnt 0x0
	s_or_b32 exec_lo, exec_lo, s5
	v_add_nc_u64_e32 v[8:9], s[16:17], v[8:9]
	v_dual_mov_b32 v10, v12 :: v_dual_mov_b32 v12, v4
	v_dual_mov_b32 v4, v5 :: v_dual_mov_b32 v5, v6
	;; [unrolled: 1-line block ×3, first 2 shown]
	s_add_co_i32 s6, s6, -1
	s_add_co_i32 s4, s4, s12
	s_cmp_eq_u32 s6, 0
	s_cbranch_scc1 .LBB0_9
.LBB0_3:                                ; =>This Inner Loop Header: Depth=1
	global_load_b32 v7, v[8:9], off
	s_wait_loadcnt 0x6
	v_dual_mov_b32 v2, v1 :: v_dual_mov_b32 v1, v0
	s_wait_loadcnt 0x1
	v_mov_b32_e32 v0, v10
	s_wait_loadcnt 0x0
	s_barrier_signal -1
	s_barrier_wait -1
	s_wait_xcnt 0x0
	s_and_saveexec_b32 s5, vcc_lo
	s_cbranch_execz .LBB0_5
; %bb.4:                                ;   in Loop: Header=BB0_3 Depth=1
	v_dual_add_nc_u32 v10, s4, v18 :: v_dual_add_nc_u32 v11, s4, v17
	s_clause 0x1
	global_load_b32 v20, v10, s[10:11] scale_offset
	global_load_b32 v21, v11, s[10:11] scale_offset
	s_wait_loadcnt 0x1
	ds_store_b32 v13, v20 offset:16
	s_wait_loadcnt 0x0
	ds_store_b32 v14, v21 offset:656
.LBB0_5:                                ;   in Loop: Header=BB0_3 Depth=1
	s_wait_xcnt 0x0
	s_or_b32 exec_lo, exec_lo, s5
	v_add_nc_u32_e32 v10, s4, v16
	s_and_saveexec_b32 s5, s0
	s_cbranch_execz .LBB0_7
; %bb.6:                                ;   in Loop: Header=BB0_3 Depth=1
	s_delay_alu instid0(VALU_DEP_1) | instskip(NEXT) | instid1(VALU_DEP_1)
	v_ashrrev_i32_e32 v11, 31, v10
	v_lshl_add_u64 v[20:21], v[10:11], 2, s[10:11]
	s_delay_alu instid0(VALU_DEP_1)
	v_add_nc_u64_e32 v[20:21], s[2:3], v[20:21]
	s_clause 0x1
	global_load_b32 v11, v10, s[10:11] offset:-16 scale_offset
	global_load_b32 v22, v[20:21], off
	s_wait_loadcnt 0x1
	ds_store_b32 v13, v11 offset:640
	s_wait_loadcnt 0x0
	ds_store_b32 v15, v22 offset:656
.LBB0_7:                                ;   in Loop: Header=BB0_3 Depth=1
	s_wait_xcnt 0x0
	s_or_b32 exec_lo, exec_lo, s5
	ds_store_b32 v13, v12 offset:656
	s_wait_dscnt 0x0
	s_barrier_signal -1
	s_barrier_wait -1
	s_and_saveexec_b32 s5, s1
	s_cbranch_execz .LBB0_2
; %bb.8:                                ;   in Loop: Header=BB0_3 Depth=1
	ds_load_2addr_b32 v[20:21], v13 offset0:84 offset1:124
	ds_load_2addr_b32 v[22:23], v13 offset0:4 offset1:44
	;; [unrolled: 1-line block ×4, first 2 shown]
	s_load_b128 s[20:23], s[14:15], 0x0
	v_pk_add_f32 v[28:29], v[4:5], v[0:1]
	v_pk_add_f32 v[36:37], v[6:7], v[2:3]
	s_wait_dscnt 0x3
	v_dual_mov_b32 v30, v21 :: v_dual_mov_b32 v31, v20
	ds_load_2addr_b32 v[20:21], v13 offset0:165 offset1:166
	ds_load_2addr_b32 v[32:33], v19 offset0:28 offset1:68
	s_wait_dscnt 0x4
	v_dual_mov_b32 v38, v23 :: v_dual_mov_b32 v39, v22
	v_pk_add_f32 v[28:29], v[28:29], v[30:31]
	ds_load_2addr_b32 v[30:31], v13 offset0:167 offset1:168
	ds_load_2addr_b32 v[34:35], v13 offset0:160 offset1:161
	s_load_b32 s7, s[14:15], 0x10
	s_wait_dscnt 0x5
	v_pk_add_f32 v[24:25], v[28:29], v[24:25]
	s_wait_dscnt 0x4
	s_delay_alu instid0(VALU_DEP_1)
	v_pk_add_f32 v[22:23], v[24:25], v[26:27] op_sel:[0,1] op_sel_hi:[1,0]
	v_pk_add_f32 v[24:25], v[36:37], v[38:39]
	s_wait_kmcnt 0x0
	v_dual_mov_b32 v26, s21 :: v_dual_mov_b32 v27, s22
	s_wait_dscnt 0x3
	v_pk_add_f32 v[20:21], v[22:23], v[20:21]
	s_wait_dscnt 0x2
	v_pk_add_f32 v[22:23], v[24:25], v[32:33]
	v_mov_b32_e32 v24, s23
	s_delay_alu instid0(VALU_DEP_3) | instskip(SKIP_1) | instid1(VALU_DEP_3)
	v_pk_mul_f32 v[20:21], v[26:27], v[20:21]
	s_wait_dscnt 0x0
	v_pk_add_f32 v[22:23], v[22:23], v[34:35] op_sel:[0,1] op_sel_hi:[1,0]
	s_delay_alu instid0(VALU_DEP_2) | instskip(NEXT) | instid1(VALU_DEP_2)
	v_dual_mov_b32 v25, s7 :: v_dual_fma_f32 v3, s20, v12, v20
	v_pk_add_f32 v[22:23], v[22:23], v[30:31]
	s_delay_alu instid0(VALU_DEP_2) | instskip(NEXT) | instid1(VALU_DEP_2)
	v_add_f32_e32 v3, v3, v21
	v_pk_mul_f32 v[20:21], v[24:25], v[22:23]
	s_delay_alu instid0(VALU_DEP_1) | instskip(NEXT) | instid1(VALU_DEP_1)
	v_add_f32_e32 v3, v3, v20
	v_add_f32_e32 v3, v3, v21
	global_store_b32 v10, v3, s[8:9] scale_offset
	s_branch .LBB0_2
.LBB0_9:
	s_endpgm
	.section	.rodata,"a",@progbits
	.p2align	6, 0x0
	.amdhsa_kernel _Z17finite_differencePfPKfS1_iiii
		.amdhsa_group_segment_fixed_size 3840
		.amdhsa_private_segment_fixed_size 0
		.amdhsa_kernarg_size 296
		.amdhsa_user_sgpr_count 2
		.amdhsa_user_sgpr_dispatch_ptr 0
		.amdhsa_user_sgpr_queue_ptr 0
		.amdhsa_user_sgpr_kernarg_segment_ptr 1
		.amdhsa_user_sgpr_dispatch_id 0
		.amdhsa_user_sgpr_kernarg_preload_length 0
		.amdhsa_user_sgpr_kernarg_preload_offset 0
		.amdhsa_user_sgpr_private_segment_size 0
		.amdhsa_wavefront_size32 1
		.amdhsa_uses_dynamic_stack 0
		.amdhsa_enable_private_segment 0
		.amdhsa_system_sgpr_workgroup_id_x 1
		.amdhsa_system_sgpr_workgroup_id_y 1
		.amdhsa_system_sgpr_workgroup_id_z 0
		.amdhsa_system_sgpr_workgroup_info 0
		.amdhsa_system_vgpr_workitem_id 1
		.amdhsa_next_free_vgpr 40
		.amdhsa_next_free_sgpr 24
		.amdhsa_named_barrier_count 0
		.amdhsa_reserve_vcc 1
		.amdhsa_float_round_mode_32 0
		.amdhsa_float_round_mode_16_64 0
		.amdhsa_float_denorm_mode_32 3
		.amdhsa_float_denorm_mode_16_64 3
		.amdhsa_fp16_overflow 0
		.amdhsa_memory_ordered 1
		.amdhsa_forward_progress 1
		.amdhsa_inst_pref_size 10
		.amdhsa_round_robin_scheduling 0
		.amdhsa_exception_fp_ieee_invalid_op 0
		.amdhsa_exception_fp_denorm_src 0
		.amdhsa_exception_fp_ieee_div_zero 0
		.amdhsa_exception_fp_ieee_overflow 0
		.amdhsa_exception_fp_ieee_underflow 0
		.amdhsa_exception_fp_ieee_inexact 0
		.amdhsa_exception_int_div_zero 0
	.end_amdhsa_kernel
	.text
.Lfunc_end0:
	.size	_Z17finite_differencePfPKfS1_iiii, .Lfunc_end0-_Z17finite_differencePfPKfS1_iiii
                                        ; -- End function
	.set _Z17finite_differencePfPKfS1_iiii.num_vgpr, 40
	.set _Z17finite_differencePfPKfS1_iiii.num_agpr, 0
	.set _Z17finite_differencePfPKfS1_iiii.numbered_sgpr, 24
	.set _Z17finite_differencePfPKfS1_iiii.num_named_barrier, 0
	.set _Z17finite_differencePfPKfS1_iiii.private_seg_size, 0
	.set _Z17finite_differencePfPKfS1_iiii.uses_vcc, 1
	.set _Z17finite_differencePfPKfS1_iiii.uses_flat_scratch, 0
	.set _Z17finite_differencePfPKfS1_iiii.has_dyn_sized_stack, 0
	.set _Z17finite_differencePfPKfS1_iiii.has_recursion, 0
	.set _Z17finite_differencePfPKfS1_iiii.has_indirect_call, 0
	.section	.AMDGPU.csdata,"",@progbits
; Kernel info:
; codeLenInByte = 1264
; TotalNumSgprs: 26
; NumVgprs: 40
; ScratchSize: 0
; MemoryBound: 0
; FloatMode: 240
; IeeeMode: 1
; LDSByteSize: 3840 bytes/workgroup (compile time only)
; SGPRBlocks: 0
; VGPRBlocks: 2
; NumSGPRsForWavesPerEU: 26
; NumVGPRsForWavesPerEU: 40
; NamedBarCnt: 0
; Occupancy: 16
; WaveLimiterHint : 0
; COMPUTE_PGM_RSRC2:SCRATCH_EN: 0
; COMPUTE_PGM_RSRC2:USER_SGPR: 2
; COMPUTE_PGM_RSRC2:TRAP_HANDLER: 0
; COMPUTE_PGM_RSRC2:TGID_X_EN: 1
; COMPUTE_PGM_RSRC2:TGID_Y_EN: 1
; COMPUTE_PGM_RSRC2:TGID_Z_EN: 0
; COMPUTE_PGM_RSRC2:TIDIG_COMP_CNT: 1
	.text
	.p2alignl 7, 3214868480
	.fill 96, 4, 3214868480
	.section	.AMDGPU.gpr_maximums,"",@progbits
	.set amdgpu.max_num_vgpr, 0
	.set amdgpu.max_num_agpr, 0
	.set amdgpu.max_num_sgpr, 0
	.text
	.type	__hip_cuid_a96d8f43e37d8f21,@object ; @__hip_cuid_a96d8f43e37d8f21
	.section	.bss,"aw",@nobits
	.globl	__hip_cuid_a96d8f43e37d8f21
__hip_cuid_a96d8f43e37d8f21:
	.byte	0                               ; 0x0
	.size	__hip_cuid_a96d8f43e37d8f21, 1

	.ident	"AMD clang version 22.0.0git (https://github.com/RadeonOpenCompute/llvm-project roc-7.2.4 26084 f58b06dce1f9c15707c5f808fd002e18c2accf7e)"
	.section	".note.GNU-stack","",@progbits
	.addrsig
	.addrsig_sym __hip_cuid_a96d8f43e37d8f21
	.amdgpu_metadata
---
amdhsa.kernels:
  - .args:
      - .actual_access:  write_only
        .address_space:  global
        .offset:         0
        .size:           8
        .value_kind:     global_buffer
      - .actual_access:  read_only
        .address_space:  global
        .offset:         8
        .size:           8
        .value_kind:     global_buffer
      - .actual_access:  read_only
        .address_space:  global
        .offset:         16
        .size:           8
        .value_kind:     global_buffer
      - .offset:         24
        .size:           4
        .value_kind:     by_value
      - .offset:         28
        .size:           4
        .value_kind:     by_value
      - .offset:         32
        .size:           4
        .value_kind:     by_value
      - .offset:         36
        .size:           4
        .value_kind:     by_value
      - .offset:         40
        .size:           4
        .value_kind:     hidden_block_count_x
      - .offset:         44
        .size:           4
        .value_kind:     hidden_block_count_y
      - .offset:         48
        .size:           4
        .value_kind:     hidden_block_count_z
      - .offset:         52
        .size:           2
        .value_kind:     hidden_group_size_x
      - .offset:         54
        .size:           2
        .value_kind:     hidden_group_size_y
      - .offset:         56
        .size:           2
        .value_kind:     hidden_group_size_z
      - .offset:         58
        .size:           2
        .value_kind:     hidden_remainder_x
      - .offset:         60
        .size:           2
        .value_kind:     hidden_remainder_y
      - .offset:         62
        .size:           2
        .value_kind:     hidden_remainder_z
      - .offset:         80
        .size:           8
        .value_kind:     hidden_global_offset_x
      - .offset:         88
        .size:           8
        .value_kind:     hidden_global_offset_y
      - .offset:         96
        .size:           8
        .value_kind:     hidden_global_offset_z
      - .offset:         104
        .size:           2
        .value_kind:     hidden_grid_dims
    .group_segment_fixed_size: 3840
    .kernarg_segment_align: 8
    .kernarg_segment_size: 296
    .language:       OpenCL C
    .language_version:
      - 2
      - 0
    .max_flat_workgroup_size: 1024
    .name:           _Z17finite_differencePfPKfS1_iiii
    .private_segment_fixed_size: 0
    .sgpr_count:     26
    .sgpr_spill_count: 0
    .symbol:         _Z17finite_differencePfPKfS1_iiii.kd
    .uniform_work_group_size: 1
    .uses_dynamic_stack: false
    .vgpr_count:     40
    .vgpr_spill_count: 0
    .wavefront_size: 32
amdhsa.target:   amdgcn-amd-amdhsa--gfx1250
amdhsa.version:
  - 1
  - 2
...

	.end_amdgpu_metadata
